;; amdgpu-corpus repo=ROCm/rocFFT kind=compiled arch=gfx950 opt=O3
	.text
	.amdgcn_target "amdgcn-amd-amdhsa--gfx950"
	.amdhsa_code_object_version 6
	.protected	bluestein_single_back_len56_dim1_sp_op_CI_CI ; -- Begin function bluestein_single_back_len56_dim1_sp_op_CI_CI
	.globl	bluestein_single_back_len56_dim1_sp_op_CI_CI
	.p2align	8
	.type	bluestein_single_back_len56_dim1_sp_op_CI_CI,@function
bluestein_single_back_len56_dim1_sp_op_CI_CI: ; @bluestein_single_back_len56_dim1_sp_op_CI_CI
; %bb.0:
	s_load_dwordx4 s[12:15], s[0:1], 0x28
	v_lshrrev_b32_e32 v1, 3, v0
	v_mov_b32_e32 v41, 0
	v_lshl_or_b32 v28, s2, 4, v1
	v_mov_b32_e32 v29, v41
	s_waitcnt lgkmcnt(0)
	v_cmp_gt_u64_e32 vcc, s[12:13], v[28:29]
	s_and_saveexec_b64 s[2:3], vcc
	s_cbranch_execz .LBB0_12
; %bb.1:
	s_load_dwordx4 s[4:7], s[0:1], 0x18
	s_load_dwordx4 s[8:11], s[0:1], 0x0
	v_and_b32_e32 v29, 7, v0
	v_mov_b32_e32 v2, s14
	v_mov_b32_e32 v3, s15
	s_waitcnt lgkmcnt(0)
	s_load_dwordx4 s[16:19], s[4:5], 0x0
	v_lshlrev_b32_e32 v40, 3, v29
	v_mul_u32_u24_e32 v48, 56, v1
	v_lshl_or_b32 v56, v48, 3, v40
	s_mov_b32 s13, 0x3f3bfb3b
	s_waitcnt lgkmcnt(0)
	v_mad_u64_u32 v[4:5], s[2:3], s18, v28, 0
	v_mad_u64_u32 v[6:7], s[2:3], s16, v29, 0
	v_mov_b32_e32 v0, v5
	v_mad_u64_u32 v[8:9], s[2:3], s19, v28, v[0:1]
	v_mov_b32_e32 v0, v7
	v_mov_b32_e32 v5, v8
	v_mad_u64_u32 v[8:9], s[2:3], s17, v29, v[0:1]
	v_mov_b32_e32 v7, v8
	v_lshl_add_u64 v[2:3], v[4:5], 3, v[2:3]
	v_lshl_add_u64 v[2:3], v[6:7], 3, v[2:3]
	s_lshl_b64 s[2:3], s[16:17], 6
	global_load_dwordx2 v[38:39], v40, s[8:9]
	global_load_dwordx2 v[4:5], v[2:3], off
	v_lshl_add_u64 v[2:3], v[2:3], 0, s[2:3]
	global_load_dwordx2 v[6:7], v[2:3], off
	global_load_dwordx2 v[36:37], v40, s[8:9] offset:64
	v_lshl_add_u64 v[2:3], v[2:3], 0, s[2:3]
	global_load_dwordx2 v[34:35], v40, s[8:9] offset:128
	global_load_dwordx2 v[8:9], v[2:3], off
	v_lshl_add_u64 v[2:3], v[2:3], 0, s[2:3]
	global_load_dwordx2 v[10:11], v[2:3], off
	global_load_dwordx2 v[32:33], v40, s[8:9] offset:192
	v_lshl_add_u64 v[2:3], v[2:3], 0, s[2:3]
	global_load_dwordx2 v[12:13], v[2:3], off
	global_load_dwordx2 v[30:31], v40, s[8:9] offset:256
	;; [unrolled: 3-line block ×3, first 2 shown]
	global_load_dwordx2 v[24:25], v40, s[8:9] offset:384
	v_lshl_add_u64 v[2:3], v[2:3], 0, s[2:3]
	global_load_dwordx2 v[2:3], v[2:3], off
	v_or_b32_e32 v0, v48, v29
	v_lshlrev_b32_e32 v57, 3, v0
	s_load_dwordx4 s[4:7], s[6:7], 0x0
	s_mov_b32 s12, 0x3d64c772
	s_mov_b32 s14, s13
	;; [unrolled: 1-line block ×7, first 2 shown]
	s_load_dwordx2 s[0:1], s[0:1], 0x38
	v_cmp_ne_u32_e32 vcc, 7, v29
                                        ; implicit-def: $vgpr49
	s_waitcnt vmcnt(12)
	v_mul_f32_e32 v0, v5, v39
	v_mul_f32_e32 v1, v4, v39
	v_fmac_f32_e32 v0, v4, v38
	v_fma_f32 v1, v5, v38, -v1
	s_waitcnt vmcnt(10)
	v_mul_f32_e32 v4, v7, v37
	v_mul_f32_e32 v5, v6, v37
	ds_write_b64 v57, v[0:1]
	s_waitcnt vmcnt(8)
	v_mul_f32_e32 v0, v9, v35
	v_mul_f32_e32 v1, v8, v35
	v_fmac_f32_e32 v4, v6, v36
	v_fma_f32 v5, v7, v36, -v5
	v_fmac_f32_e32 v0, v8, v34
	v_fma_f32 v1, v9, v34, -v1
	s_waitcnt vmcnt(6)
	v_mul_f32_e32 v6, v11, v33
	v_mul_f32_e32 v7, v10, v33
	ds_write2_b64 v56, v[4:5], v[0:1] offset0:8 offset1:16
	s_waitcnt vmcnt(4)
	v_mul_f32_e32 v0, v13, v31
	v_mul_f32_e32 v1, v12, v31
	v_fmac_f32_e32 v6, v10, v32
	v_fma_f32 v7, v11, v32, -v7
	v_fmac_f32_e32 v0, v12, v30
	v_fma_f32 v1, v13, v30, -v1
	s_waitcnt vmcnt(2)
	v_mul_f32_e32 v4, v15, v27
	v_mul_f32_e32 v5, v14, v27
	ds_write2_b64 v56, v[6:7], v[0:1] offset0:24 offset1:32
	s_waitcnt vmcnt(0)
	v_mul_f32_e32 v0, v3, v25
	v_mul_f32_e32 v1, v2, v25
	v_fmac_f32_e32 v4, v14, v26
	v_fma_f32 v5, v15, v26, -v5
	v_fmac_f32_e32 v0, v2, v24
	v_fma_f32 v1, v3, v24, -v1
	ds_write2_b64 v56, v[4:5], v[0:1] offset0:40 offset1:48
	s_waitcnt lgkmcnt(0)
	s_barrier
	ds_read2_b64 v[0:3], v56 offset0:8 offset1:16
	ds_read2_b64 v[4:7], v56 offset0:40 offset1:48
	;; [unrolled: 1-line block ×3, first 2 shown]
	ds_read_b64 v[12:13], v57
	s_waitcnt lgkmcnt(0)
	s_barrier
	v_mov_b32_e32 v19, v0
	v_pk_add_f32 v[14:15], v[0:1], v[6:7]
	v_mov_b32_e32 v21, v6
	v_mov_b32_e32 v0, v11
	;; [unrolled: 1-line block ×3, first 2 shown]
	v_pk_add_f32 v[16:17], v[2:3], v[4:5]
	v_pk_add_f32 v[2:3], v[2:3], v[4:5] neg_lo:[0,1] neg_hi:[0,1]
	v_pk_add_f32 v[4:5], v[8:9], v[10:11]
	v_mov_b32_e32 v18, v10
	v_mov_b32_e32 v20, v8
	v_pk_add_f32 v[0:1], v[0:1], v[6:7] neg_lo:[0,1] neg_hi:[0,1]
	v_pk_add_f32 v[8:9], v[18:19], v[20:21] neg_lo:[0,1] neg_hi:[0,1]
	v_mov_b32_e32 v10, v1
	v_mov_b32_e32 v22, v4
	;; [unrolled: 1-line block ×5, first 2 shown]
	v_add_f32_e32 v19, v8, v2
	v_add_f32_e32 v20, v0, v3
	v_pk_add_f32 v[10:11], v[10:11], v[0:1] neg_lo:[0,1] neg_hi:[0,1]
	v_pk_add_f32 v[22:23], v[22:23], v[44:45] neg_lo:[0,1] neg_hi:[0,1]
	v_sub_f32_e32 v21, v14, v4
	v_add_f32_e32 v11, v19, v9
	v_add_f32_e32 v19, v20, v1
	v_pk_mul_f32 v[44:45], v[22:23], s[12:13]
	v_mul_f32_e32 v18, 0x3f4a47b2, v21
	v_mul_f32_e32 v20, 0x3ee1c552, v19
	v_mov_b32_e32 v19, v44
	v_pk_fma_f32 v[46:47], v[22:23], s[12:13], v[18:19]
	v_pk_fma_f32 v[18:19], v[22:23], s[12:13], v[18:19] neg_lo:[0,0,1] neg_hi:[0,0,1]
	v_pk_add_f32 v[6:7], v[16:17], v[14:15]
	v_mov_b32_e32 v47, v19
	v_mov_b32_e32 v18, v17
	;; [unrolled: 1-line block ×5, first 2 shown]
	v_pk_add_f32 v[6:7], v[4:5], v[6:7]
	v_pk_add_f32 v[18:19], v[18:19], v[22:23] neg_lo:[0,1] neg_hi:[0,1]
	v_mov_b32_e32 v22, v5
	v_mov_b32_e32 v23, v9
	;; [unrolled: 1-line block ×6, first 2 shown]
	v_pk_add_f32 v[4:5], v[4:5], v[8:9] neg_lo:[0,1] neg_hi:[0,1]
	s_mov_b32 s13, 0xbf08b237
	v_mov_b32_e32 v14, v15
	v_mov_b32_e32 v15, v2
	v_pk_mul_f32 v[4:5], v[4:5], s[12:13]
	v_pk_add_f32 v[42:43], v[12:13], v[6:7]
	v_fma_f32 v21, v21, s3, -v45
	v_pk_add_f32 v[14:15], v[14:15], v[22:23] neg_lo:[0,1] neg_hi:[0,1]
	s_mov_b32 s3, 0x3f5ff5aa
	v_pk_fma_f32 v[8:9], v[18:19], s[14:15], v[4:5] neg_lo:[0,0,1] neg_hi:[0,0,1]
	v_pk_fma_f32 v[16:17], v[18:19], s[14:15], v[4:5]
	v_mov_b32_e32 v2, v0
	v_mov_b32_e32 v0, v3
	v_mul_f32_e32 v12, 0x3ee1c552, v11
	v_fmamk_f32 v13, v7, 0xbf955555, v43
	v_pk_mul_f32 v[22:23], v[14:15], s[2:3]
	v_pk_fma_f32 v[44:45], v[14:15], s[2:3], v[4:5]
	v_pk_fma_f32 v[4:5], v[14:15], s[2:3], v[4:5] neg_lo:[0,0,1] neg_hi:[0,0,1]
	v_mov_b32_e32 v14, v17
	v_mov_b32_e32 v15, v8
	v_pk_add_f32 v[0:1], v[2:3], v[0:1] neg_lo:[0,1] neg_hi:[0,1]
	s_mov_b32 s2, s13
	v_mov_b32_e32 v45, v5
	v_pk_fma_f32 v[4:5], v[18:19], s[14:15], v[22:23] neg_lo:[1,0,1] neg_hi:[1,0,1]
	v_pk_add_f32 v[8:9], v[14:15], v[12:13]
	v_mov_b32_e32 v14, v13
	v_mov_b32_e32 v15, v12
	v_pk_mul_f32 v[2:3], v[0:1], s[2:3]
	v_pk_add_f32 v[16:17], v[14:15], v[44:45]
	v_pk_add_f32 v[14:15], v[4:5], v[14:15]
	v_mov_b32_e32 v11, v6
	v_xor_b32_e32 v4, 0x80000000, v3
	v_mov_b32_e32 v5, v2
	v_pk_fma_f32 v[2:3], v[10:11], s[16:17], v[2:3]
	v_pk_fma_f32 v[0:1], v[0:1], s[2:3], v[4:5] neg_lo:[0,0,1] neg_hi:[0,0,1]
	v_mov_b32_e32 v5, v42
	v_mov_b32_e32 v3, v1
	v_pk_fma_f32 v[0:1], v[10:11], s[16:17], v[4:5] neg_lo:[1,0,0] neg_hi:[1,0,0]
	v_pk_add_f32 v[10:11], v[20:21], v[2:3] op_sel_hi:[0,1]
	v_pk_add_f32 v[4:5], v[46:47], v[0:1] op_sel:[0,1]
	v_pk_add_f32 v[0:1], v[20:21], v[0:1]
	v_pk_add_f32 v[2:3], v[16:17], v[8:9]
	v_pk_add_f32 v[12:13], v[16:17], v[8:9] neg_lo:[0,1] neg_hi:[0,1]
	v_mov_b32_e32 v19, v9
	v_mov_b32_e32 v21, v17
	;; [unrolled: 1-line block ×6, first 2 shown]
	v_pk_add_f32 v[16:17], v[8:9], v[16:17]
	v_mov_b32_e32 v8, v0
	v_mov_b32_e32 v9, v14
	;; [unrolled: 1-line block ×3, first 2 shown]
	v_pk_add_f32 v[6:7], v[4:5], v[10:11] neg_lo:[0,1] neg_hi:[0,1]
	v_pk_add_f32 v[44:45], v[4:5], v[10:11]
	v_pk_add_f32 v[18:19], v[18:19], v[20:21] neg_lo:[0,1] neg_hi:[0,1]
	v_mul_u32_u24_e32 v4, 7, v29
	v_pk_add_f32 v[22:23], v[8:9], v[14:15]
	v_pk_add_f32 v[46:47], v[14:15], v[0:1] neg_lo:[0,1] neg_hi:[0,1]
	v_add_lshl_u32 v58, v48, v4, 3
	v_pk_add_f32 v[8:9], v[8:9], v[14:15] neg_lo:[0,1] neg_hi:[0,1]
	v_mov_b32_e32 v0, v17
	v_mov_b32_e32 v1, v19
	v_mov_b32_e32 v47, v23
	v_mul_hi_u32_u24_e32 v5, 7, v29
	v_mov_b32_e32 v45, v12
	v_mov_b32_e32 v8, v22
	;; [unrolled: 1-line block ×3, first 2 shown]
	ds_write2_b64 v58, v[0:1], v[46:47] offset0:4 offset1:5
	v_mov_b32_e32 v0, v18
	v_mov_b32_e32 v1, v16
	ds_write2_b64 v58, v[42:43], v[44:45] offset1:1
	ds_write2_b64 v58, v[8:9], v[2:3] offset0:2 offset1:3
	ds_write_b64 v58, v[0:1] offset:48
	s_waitcnt lgkmcnt(0)
	s_barrier
	s_waitcnt lgkmcnt(0)
                                        ; implicit-def: $vgpr14
	s_and_saveexec_b64 s[2:3], vcc
	s_xor_b64 s[2:3], exec, s[2:3]
	s_cbranch_execz .LBB0_3
; %bb.2:
	ds_read2_b64 v[20:23], v56 offset0:7 offset1:14
	ds_read2_b64 v[12:15], v56 offset0:21 offset1:28
	;; [unrolled: 1-line block ×3, first 2 shown]
	ds_read_b64 v[42:43], v57
	ds_read_b64 v[48:49], v56 offset:392
	s_waitcnt lgkmcnt(4)
	v_mov_b32_e32 v44, v20
	s_waitcnt lgkmcnt(3)
	v_mov_b32_e32 v45, v12
	v_mov_b32_e32 v12, v21
	s_waitcnt lgkmcnt(2)
	v_mov_b32_e32 v46, v16
	s_waitcnt lgkmcnt(0)
	v_mov_b32_e32 v47, v48
	v_mov_b32_e32 v48, v17
	;; [unrolled: 1-line block ×6, first 2 shown]
                                        ; implicit-def: $vgpr8_vgpr9
                                        ; implicit-def: $vgpr6_vgpr7
                                        ; implicit-def: $vgpr0_vgpr1_vgpr2_vgpr3
.LBB0_3:
	s_andn2_saveexec_b64 s[2:3], s[2:3]
; %bb.4:
	v_mov_b32_e32 v45, v7
	v_mov_b32_e32 v13, v3
	;; [unrolled: 1-line block ×4, first 2 shown]
	v_mov_b64_e32 v[4:5], 0
	v_mov_b32_e32 v14, v9
; %bb.5:
	s_or_b64 exec, exec, s[2:3]
	v_lshl_add_u64 v[50:51], v[4:5], 3, s[10:11]
	global_load_dwordx4 v[4:7], v[50:51], off
	global_load_dwordx4 v[8:11], v[50:51], off offset:16
	global_load_dwordx4 v[0:3], v[50:51], off offset:32
	global_load_dwordx2 v[20:21], v[50:51], off offset:48
	s_mov_b32 s2, 0x3f3504f3
	v_lshl_add_u64 v[50:51], s[8:9], 0, v[40:41]
	s_waitcnt vmcnt(3)
	v_pk_mul_f32 v[22:23], v[22:23], v[6:7] op_sel_hi:[0,1]
	v_mov_b32_e32 v54, v5
	s_waitcnt vmcnt(2)
	v_mov_b32_e32 v55, v9
	v_pk_mul_f32 v[60:61], v[18:19], v[10:11] op_sel:[1,0]
	s_waitcnt vmcnt(1)
	v_pk_mul_f32 v[62:63], v[18:19], v[2:3] op_sel_hi:[0,1]
	v_mov_b32_e32 v66, v1
	s_waitcnt vmcnt(0)
	v_mov_b32_e32 v67, v21
	v_mov_b32_e32 v52, v4
	;; [unrolled: 1-line block ×5, first 2 shown]
	v_pk_fma_f32 v[68:69], v[14:15], v[6:7], v[22:23] op_sel:[0,0,1] op_sel_hi:[0,1,0] neg_lo:[1,0,0] neg_hi:[1,0,0]
	v_pk_fma_f32 v[18:19], v[14:15], v[6:7], v[22:23] op_sel:[0,0,1] op_sel_hi:[0,1,0]
	v_pk_mul_f32 v[14:15], v[12:13], v[54:55]
	v_pk_mul_f32 v[22:23], v[44:45], v[54:55]
	v_pk_fma_f32 v[54:55], v[16:17], v[10:11], v[60:61] op_sel:[0,0,1] op_sel_hi:[1,1,0]
	v_pk_fma_f32 v[60:61], v[16:17], v[10:11], v[60:61] op_sel:[1,0,1] op_sel_hi:[1,1,0] neg_lo:[0,0,1] neg_hi:[0,0,1]
	v_pk_fma_f32 v[70:71], v[16:17], v[2:3], v[62:63] op_sel:[0,0,1] op_sel_hi:[0,1,0] neg_lo:[1,0,0] neg_hi:[1,0,0]
	v_pk_fma_f32 v[62:63], v[16:17], v[2:3], v[62:63] op_sel:[0,0,1] op_sel_hi:[0,1,0]
	v_pk_mul_f32 v[72:73], v[48:49], v[66:67]
	v_pk_mul_f32 v[66:67], v[46:47], v[66:67]
	v_mov_b32_e32 v19, v69
	v_pk_fma_f32 v[44:45], v[44:45], v[52:53], v[14:15] neg_lo:[0,0,1] neg_hi:[0,0,1]
	v_pk_fma_f32 v[16:17], v[12:13], v[52:53], v[22:23]
	v_mov_b32_e32 v61, v55
	v_mov_b32_e32 v63, v71
	v_pk_fma_f32 v[12:13], v[46:47], v[64:65], v[72:73] neg_lo:[0,0,1] neg_hi:[0,0,1]
	v_pk_fma_f32 v[22:23], v[48:49], v[64:65], v[66:67]
	v_pk_add_f32 v[14:15], v[42:43], v[60:61] neg_lo:[0,1] neg_hi:[0,1]
	v_pk_add_f32 v[54:55], v[18:19], v[62:63] neg_lo:[0,1] neg_hi:[0,1]
	;; [unrolled: 1-line block ×4, first 2 shown]
	v_pk_add_f32 v[22:23], v[14:15], v[54:55]
	v_pk_add_f32 v[12:13], v[14:15], v[54:55] neg_lo:[0,1] neg_hi:[0,1]
	v_pk_add_f32 v[60:61], v[52:53], v[48:49] op_sel:[0,1] op_sel_hi:[1,0]
	v_pk_add_f32 v[46:47], v[52:53], v[48:49] op_sel:[0,1] op_sel_hi:[1,0] neg_lo:[0,1] neg_hi:[0,1]
	v_mov_b32_e32 v13, v23
	v_mov_b32_e32 v47, v61
	v_pk_mul_f32 v[22:23], v[46:47], s[2:3] op_sel_hi:[1,0]
	v_pk_fma_f32 v[60:61], v[46:47], s[2:3], v[12:13] op_sel_hi:[1,0,1]
	s_nop 0
	v_pk_add_f32 v[62:63], v[60:61], v[22:23] op_sel:[0,1] op_sel_hi:[1,0]
	v_pk_add_f32 v[22:23], v[60:61], v[22:23] op_sel:[0,1] op_sel_hi:[1,0] neg_lo:[0,1] neg_hi:[0,1]
	s_nop 0
	v_mov_b32_e32 v23, v63
	s_and_saveexec_b64 s[10:11], vcc
	s_cbranch_execz .LBB0_7
; %bb.6:
	v_mov_b32_e32 v61, v48
	v_pk_fma_f32 v[18:19], v[18:19], 2.0, v[54:55] op_sel_hi:[1,0,1] neg_lo:[0,0,1] neg_hi:[0,0,1]
	v_mov_b32_e32 v54, v44
	v_mov_b32_e32 v55, v16
	;; [unrolled: 1-line block ×5, first 2 shown]
	v_pk_fma_f32 v[42:43], v[42:43], 2.0, v[14:15] op_sel_hi:[1,0,1] neg_lo:[0,0,1] neg_hi:[0,0,1]
	v_pk_fma_f32 v[54:55], v[54:55], 2.0, v[60:61] op_sel_hi:[1,0,1] neg_lo:[0,0,1] neg_hi:[0,0,1]
	;; [unrolled: 1-line block ×3, first 2 shown]
	v_pk_add_f32 v[18:19], v[42:43], v[18:19] op_sel:[0,1] op_sel_hi:[1,0] neg_lo:[0,1] neg_hi:[0,1]
	v_pk_add_f32 v[16:17], v[54:55], v[16:17] neg_lo:[0,1] neg_hi:[0,1]
	v_pk_fma_f32 v[42:43], v[42:43], 2.0, v[18:19] op_sel_hi:[1,0,1] neg_lo:[0,0,1] neg_hi:[0,0,1]
	v_pk_fma_f32 v[44:45], v[54:55], 2.0, v[16:17] op_sel_hi:[1,0,1] neg_lo:[0,0,1] neg_hi:[0,0,1]
	;; [unrolled: 1-line block ×3, first 2 shown]
	v_pk_add_f32 v[44:45], v[42:43], v[44:45] neg_lo:[0,1] neg_hi:[0,1]
	v_pk_fma_f32 v[12:13], v[12:13], 2.0, v[22:23] op_sel_hi:[1,0,1] neg_lo:[0,0,1] neg_hi:[0,0,1]
	v_pk_fma_f32 v[42:43], v[42:43], 2.0, v[44:45] op_sel_hi:[1,0,1] neg_lo:[0,0,1] neg_hi:[0,0,1]
	ds_write_b64 v57, v[42:43]
	v_pk_fma_f32 v[42:43], v[60:61], 2.0, v[46:47] op_sel_hi:[1,0,1] neg_lo:[0,0,1] neg_hi:[0,0,1]
	s_nop 0
	v_pk_mul_f32 v[46:47], v[42:43], s[2:3] op_sel_hi:[1,0]
	v_pk_fma_f32 v[42:43], v[42:43], s[2:3], v[14:15] op_sel_hi:[1,0,1] neg_lo:[1,0,0] neg_hi:[1,0,0]
	s_nop 0
	v_pk_add_f32 v[48:49], v[42:43], v[46:47] op_sel:[0,1] op_sel_hi:[1,0] neg_lo:[0,1] neg_hi:[0,1]
	v_pk_add_f32 v[42:43], v[42:43], v[46:47] op_sel:[0,1] op_sel_hi:[1,0]
	s_nop 0
	v_mov_b32_e32 v49, v43
	v_pk_add_f32 v[42:43], v[18:19], v[16:17] op_sel:[0,1] op_sel_hi:[1,0] neg_lo:[0,1] neg_hi:[0,1]
	v_pk_add_f32 v[16:17], v[18:19], v[16:17] op_sel:[0,1] op_sel_hi:[1,0]
	v_pk_fma_f32 v[14:15], v[14:15], 2.0, v[48:49] op_sel_hi:[1,0,1] neg_lo:[0,0,1] neg_hi:[0,0,1]
	v_mov_b32_e32 v43, v17
	v_pk_fma_f32 v[16:17], v[18:19], 2.0, v[42:43] op_sel_hi:[1,0,1] neg_lo:[0,0,1] neg_hi:[0,0,1]
	ds_write2_b64 v56, v[14:15], v[16:17] offset0:7 offset1:14
	ds_write2_b64 v56, v[12:13], v[44:45] offset0:21 offset1:28
	;; [unrolled: 1-line block ×3, first 2 shown]
	ds_write_b64 v56, v[22:23] offset:392
.LBB0_7:
	s_or_b64 exec, exec, s[10:11]
	s_waitcnt lgkmcnt(0)
	s_barrier
	global_load_dwordx2 v[12:13], v[50:51], off offset:448
	s_add_u32 s2, s8, 0x1c0
	s_addc_u32 s3, s9, 0
	global_load_dwordx2 v[44:45], v40, s[2:3] offset:64
	global_load_dwordx2 v[46:47], v40, s[2:3] offset:128
	;; [unrolled: 1-line block ×6, first 2 shown]
	ds_read_b64 v[14:15], v57
	s_mov_b32 s2, 0x3d64c772
	s_mov_b32 s14, 0x3f3bfb3b
	;; [unrolled: 1-line block ×9, first 2 shown]
	s_waitcnt vmcnt(6) lgkmcnt(0)
	v_mul_f32_e32 v16, v15, v13
	v_mul_f32_e32 v17, v14, v13
	v_fma_f32 v16, v14, v12, -v16
	v_fmac_f32_e32 v17, v15, v12
	ds_write_b64 v57, v[16:17]
	ds_read2_b64 v[12:15], v56 offset0:8 offset1:16
	ds_read2_b64 v[16:19], v56 offset0:24 offset1:32
	ds_read2_b64 v[40:43], v56 offset0:40 offset1:48
	s_waitcnt vmcnt(5) lgkmcnt(2)
	v_mul_f32_e32 v59, v13, v45
	v_mul_f32_e32 v61, v12, v45
	s_waitcnt vmcnt(4)
	v_mul_f32_e32 v62, v15, v47
	v_mul_f32_e32 v45, v14, v47
	s_waitcnt vmcnt(3) lgkmcnt(1)
	v_mul_f32_e32 v63, v17, v49
	v_mul_f32_e32 v47, v16, v49
	s_waitcnt vmcnt(2)
	v_mul_f32_e32 v64, v19, v51
	v_mul_f32_e32 v49, v18, v51
	;; [unrolled: 6-line block ×3, first 2 shown]
	v_fma_f32 v60, v12, v44, -v59
	v_fmac_f32_e32 v61, v13, v44
	v_fma_f32 v44, v14, v46, -v62
	v_fmac_f32_e32 v45, v15, v46
	;; [unrolled: 2-line block ×6, first 2 shown]
	ds_write2_b64 v56, v[60:61], v[44:45] offset0:8 offset1:16
	ds_write2_b64 v56, v[46:47], v[48:49] offset0:24 offset1:32
	;; [unrolled: 1-line block ×3, first 2 shown]
	s_waitcnt lgkmcnt(0)
	s_barrier
	ds_read2_b64 v[12:15], v56 offset0:24 offset1:32
	ds_read2_b64 v[16:19], v56 offset0:8 offset1:16
	;; [unrolled: 1-line block ×3, first 2 shown]
	ds_read_b64 v[44:45], v57
	s_waitcnt lgkmcnt(0)
	v_pk_add_f32 v[46:47], v[12:13], v[14:15]
	v_pk_add_f32 v[12:13], v[14:15], v[12:13] neg_lo:[0,1] neg_hi:[0,1]
	v_pk_add_f32 v[48:49], v[16:17], v[42:43] neg_lo:[0,1] neg_hi:[0,1]
	v_pk_add_f32 v[50:51], v[18:19], v[40:41] neg_lo:[0,1] neg_hi:[0,1]
	v_pk_add_f32 v[16:17], v[16:17], v[42:43]
	v_pk_add_f32 v[18:19], v[18:19], v[40:41]
	;; [unrolled: 1-line block ×4, first 2 shown]
	v_pk_add_f32 v[42:43], v[18:19], v[16:17] op_sel:[1,1] op_sel_hi:[0,0] neg_lo:[0,1] neg_hi:[0,1]
	v_pk_add_f32 v[18:19], v[46:47], v[18:19] op_sel:[1,1] op_sel_hi:[0,0] neg_lo:[0,1] neg_hi:[0,1]
	v_pk_add_f32 v[14:15], v[50:51], v[48:49] neg_lo:[0,1] neg_hi:[0,1]
	v_sub_f32_e32 v55, v16, v46
	v_sub_f32_e32 v59, v49, v13
	v_mov_b32_e32 v16, v17
	v_mov_b32_e32 v17, v48
	v_pk_add_f32 v[48:49], v[52:53], v[48:49]
	v_pk_mul_f32 v[52:53], v[18:19], s[2:3] op_sel_hi:[1,0]
	v_pk_mul_f32 v[60:61], v[42:43], s[14:15] op_sel_hi:[1,0]
	v_mov_b32_e32 v54, v47
	v_fmamk_f32 v67, v55, 0x3f4a47b2, v53
	v_fma_f32 v66, v55, s3, -v61
	v_mov_b32_e32 v55, v12
	v_pk_add_f32 v[16:17], v[16:17], v[54:55] neg_lo:[0,1] neg_hi:[0,1]
	v_pk_add_f32 v[50:51], v[12:13], v[50:51] neg_lo:[0,1] neg_hi:[0,1]
	v_pk_add_f32 v[46:47], v[46:47], v[40:41]
	v_pk_mul_f32 v[64:65], v[14:15], s[16:17] op_sel_hi:[1,0]
	v_pk_mul_f32 v[54:55], v[16:17], s[10:11]
	v_pk_mul_f32 v[62:63], v[50:51], s[8:9] op_sel_hi:[1,0]
	v_pk_add_f32 v[40:41], v[44:45], v[46:47]
	v_mul_f32_e32 v13, 0x3f955555, v47
	v_pk_fma_f32 v[68:69], v[42:43], s[14:15], v[52:53] op_sel_hi:[1,0,1] neg_lo:[0,0,1] neg_hi:[0,0,1]
	v_xor_b32_e32 v53, 0x80000000, v64
	v_mov_b32_e32 v12, v55
	v_pk_mul_f32 v[44:45], v[48:49], s[12:13] op_sel_hi:[1,0]
	v_pk_fma_f32 v[14:15], v[14:15], s[16:17], v[62:63] op_sel_hi:[1,0,1] neg_lo:[0,0,1] neg_hi:[0,0,1]
	v_fmac_f32_e32 v63, 0xbeae86e6, v59
	v_fma_f32 v62, v59, s9, -v65
	v_fmamk_f32 v46, v46, 0xbf955555, v40
	v_pk_fma_f32 v[50:51], v[50:51], s[8:9], v[12:13] op_sel_hi:[1,0,1]
	v_pk_add_f32 v[64:65], v[40:41], v[12:13] neg_lo:[0,1] neg_hi:[0,1]
	v_pk_fma_f32 v[18:19], v[18:19], s[2:3], v[54:55] op_sel_hi:[1,0,1]
	v_pk_fma_f32 v[16:17], v[16:17], s[10:11], v[52:53] neg_lo:[1,0,0] neg_hi:[1,0,0]
	v_pk_fma_f32 v[14:15], v[48:49], s[12:13], v[14:15] op_sel_hi:[1,0,1]
	v_pk_add_f32 v[48:49], v[44:45], v[62:63] op_sel:[1,0]
	v_pk_add_f32 v[62:63], v[66:67], v[46:47] op_sel_hi:[1,0]
	v_mov_b32_e32 v51, v65
	v_mov_b32_e32 v12, v65
	;; [unrolled: 1-line block ×3, first 2 shown]
	v_sub_f32_e64 v45, -v54, v60
	v_mov_b32_e32 v19, v17
	v_mov_b32_e32 v16, v65
	;; [unrolled: 1-line block ×3, first 2 shown]
	v_pk_add_f32 v[42:43], v[62:63], v[48:49]
	v_pk_add_f32 v[46:47], v[68:69], v[12:13]
	v_pk_add_f32 v[12:13], v[62:63], v[48:49] neg_lo:[0,1] neg_hi:[0,1]
	v_pk_add_f32 v[48:49], v[44:45], v[50:51]
	v_pk_add_f32 v[18:19], v[18:19], v[16:17]
	v_mov_b32_e32 v16, v49
	v_mov_b32_e32 v17, v18
	;; [unrolled: 1-line block ×4, first 2 shown]
	v_pk_add_f32 v[16:17], v[16:17], v[44:45] neg_lo:[0,1] neg_hi:[0,1]
	v_pk_add_f32 v[44:45], v[14:15], v[46:47]
	v_pk_add_f32 v[14:15], v[46:47], v[14:15] neg_lo:[0,1] neg_hi:[0,1]
	v_pk_add_f32 v[46:47], v[18:19], v[48:49]
	v_mov_b32_e32 v18, v43
	v_mov_b32_e32 v19, v17
	s_barrier
	ds_write2_b64 v58, v[40:41], v[18:19] offset1:1
	v_mov_b32_e32 v18, v42
	v_mov_b32_e32 v19, v16
	;; [unrolled: 1-line block ×4, first 2 shown]
	ds_write2_b64 v58, v[18:19], v[48:49] offset0:2 offset1:3
	v_mov_b32_e32 v18, v45
	v_mov_b32_e32 v19, v14
	;; [unrolled: 1-line block ×4, first 2 shown]
	ds_write2_b64 v58, v[18:19], v[48:49] offset0:4 offset1:5
	v_mov_b32_e32 v18, v13
	v_mov_b32_e32 v19, v46
	ds_write_b64 v58, v[18:19] offset:48
	s_waitcnt lgkmcnt(0)
	s_barrier
	s_and_saveexec_b64 s[2:3], vcc
	s_xor_b64 s[2:3], exec, s[2:3]
	s_cbranch_execz .LBB0_9
; %bb.8:
	ds_read2_b64 v[12:15], v56 offset0:35 offset1:42
	ds_read2_b64 v[16:19], v56 offset0:7 offset1:14
	;; [unrolled: 1-line block ×3, first 2 shown]
	ds_read_b64 v[40:41], v57
	ds_read_b64 v[22:23], v56 offset:392
	s_waitcnt lgkmcnt(4)
	v_mov_b32_e32 v46, v15
	v_mov_b32_e32 v47, v13
	s_waitcnt lgkmcnt(2)
	v_mov_b32_e32 v44, v49
	v_mov_b32_e32 v45, v50
	;; [unrolled: 1-line block ×8, first 2 shown]
.LBB0_9:
	s_andn2_saveexec_b64 s[2:3], s[2:3]
	s_or_b64 exec, exec, s[2:3]
	s_and_saveexec_b64 s[2:3], vcc
	s_cbranch_execz .LBB0_11
; %bb.10:
	v_pk_mul_f32 v[48:49], v[6:7], v[16:17] op_sel_hi:[1,0]
	v_pk_mul_f32 v[50:51], v[2:3], v[46:47] op_sel_hi:[1,0]
	v_pk_fma_f32 v[58:59], v[6:7], v[42:43], v[48:49] op_sel:[0,0,1] op_sel_hi:[1,1,0]
	v_pk_fma_f32 v[6:7], v[6:7], v[42:43], v[48:49] op_sel:[0,0,1] op_sel_hi:[1,0,0] neg_lo:[1,0,0] neg_hi:[1,0,0]
	v_pk_mul_f32 v[18:19], v[10:11], v[14:15] op_sel_hi:[1,0]
	v_mov_b32_e32 v59, v7
	v_pk_fma_f32 v[6:7], v[2:3], v[12:13], v[50:51] op_sel:[0,1,1] op_sel_hi:[1,1,0]
	v_pk_fma_f32 v[2:3], v[2:3], v[12:13], v[50:51] op_sel:[0,1,1] op_sel_hi:[1,1,0] neg_lo:[1,0,0] neg_hi:[1,0,0]
	v_pk_mul_f32 v[52:53], v[8:9], v[44:45] op_sel_hi:[1,0]
	v_mov_b32_e32 v7, v3
	s_waitcnt lgkmcnt(0)
	v_mov_b32_e32 v54, v23
	v_pk_add_f32 v[2:3], v[58:59], v[6:7] neg_lo:[0,1] neg_hi:[0,1]
	v_pk_fma_f32 v[6:7], v[10:11], v[44:45], v[18:19] op_sel:[0,1,1] op_sel_hi:[1,1,0]
	v_pk_fma_f32 v[10:11], v[10:11], v[44:45], v[18:19] op_sel:[0,1,1] op_sel_hi:[1,1,0] neg_lo:[1,0,0] neg_hi:[1,0,0]
	v_pk_mul_f32 v[54:55], v[20:21], v[54:55] op_sel_hi:[1,0]
	v_mov_b32_e32 v7, v11
	v_pk_fma_f32 v[10:11], v[8:9], v[14:15], v[52:53] op_sel:[0,1,1] op_sel_hi:[1,1,0]
	v_pk_fma_f32 v[8:9], v[8:9], v[14:15], v[52:53] op_sel:[0,1,1] op_sel_hi:[1,1,0] neg_lo:[1,0,0] neg_hi:[1,0,0]
	v_pk_mul_f32 v[16:17], v[4:5], v[16:17] op_sel:[0,1]
	v_mov_b32_e32 v11, v9
	v_pk_fma_f32 v[8:9], v[20:21], v[22:23], v[54:55] op_sel:[0,0,1] op_sel_hi:[1,1,0]
	v_pk_fma_f32 v[14:15], v[20:21], v[22:23], v[54:55] op_sel:[0,0,1] op_sel_hi:[1,0,0] neg_lo:[1,0,0] neg_hi:[1,0,0]
	v_pk_mul_f32 v[46:47], v[0:1], v[46:47] op_sel:[0,1]
	v_mov_b32_e32 v9, v15
	v_pk_fma_f32 v[14:15], v[4:5], v[42:43], v[16:17] op_sel:[0,1,1] op_sel_hi:[1,1,0]
	v_pk_fma_f32 v[4:5], v[4:5], v[42:43], v[16:17] op_sel:[0,1,1] op_sel_hi:[1,1,0] neg_lo:[1,0,0] neg_hi:[1,0,0]
	v_pk_add_f32 v[6:7], v[40:41], v[6:7] neg_lo:[0,1] neg_hi:[0,1]
	v_mov_b32_e32 v15, v5
	v_pk_fma_f32 v[4:5], v[0:1], v[12:13], v[46:47] op_sel:[0,0,1] op_sel_hi:[1,1,0]
	v_pk_fma_f32 v[0:1], v[0:1], v[12:13], v[46:47] op_sel:[0,0,1] op_sel_hi:[1,0,0] neg_lo:[1,0,0] neg_hi:[1,0,0]
	v_pk_add_f32 v[8:9], v[10:11], v[8:9] neg_lo:[0,1] neg_hi:[0,1]
	v_mov_b32_e32 v5, v1
	v_pk_add_f32 v[0:1], v[14:15], v[4:5] neg_lo:[0,1] neg_hi:[0,1]
	v_pk_fma_f32 v[4:5], v[40:41], 2.0, v[6:7] op_sel_hi:[1,0,1] neg_lo:[0,0,1] neg_hi:[0,0,1]
	v_pk_fma_f32 v[12:13], v[58:59], 2.0, v[2:3] op_sel_hi:[1,0,1] neg_lo:[0,0,1] neg_hi:[0,0,1]
	v_pk_fma_f32 v[14:15], v[14:15], 2.0, v[0:1] op_sel_hi:[1,0,1] neg_lo:[0,0,1] neg_hi:[0,0,1]
	v_pk_fma_f32 v[10:11], v[10:11], 2.0, v[8:9] op_sel_hi:[1,0,1] neg_lo:[0,0,1] neg_hi:[0,0,1]
	v_pk_add_f32 v[12:13], v[4:5], v[12:13] neg_lo:[0,1] neg_hi:[0,1]
	v_pk_add_f32 v[10:11], v[14:15], v[10:11] neg_lo:[0,1] neg_hi:[0,1]
	v_pk_fma_f32 v[4:5], v[4:5], 2.0, v[12:13] op_sel_hi:[1,0,1] neg_lo:[0,0,1] neg_hi:[0,0,1]
	v_pk_fma_f32 v[14:15], v[14:15], 2.0, v[10:11] op_sel_hi:[1,0,1] neg_lo:[0,0,1] neg_hi:[0,0,1]
	s_mov_b32 s8, 0x3f3504f3
	v_pk_add_f32 v[14:15], v[4:5], v[14:15] neg_lo:[0,1] neg_hi:[0,1]
	s_nop 0
	v_pk_fma_f32 v[4:5], v[4:5], 2.0, v[14:15] op_sel_hi:[1,0,1] neg_lo:[0,0,1] neg_hi:[0,0,1]
	ds_write_b64 v57, v[4:5]
	v_pk_add_f32 v[4:5], v[6:7], v[2:3] op_sel:[0,1] op_sel_hi:[1,0]
	v_pk_add_f32 v[2:3], v[6:7], v[2:3] op_sel:[0,1] op_sel_hi:[1,0] neg_lo:[0,1] neg_hi:[0,1]
	s_nop 0
	v_mov_b32_e32 v5, v3
	v_pk_add_f32 v[2:3], v[0:1], v[8:9] op_sel:[0,1] op_sel_hi:[1,0]
	v_pk_add_f32 v[8:9], v[0:1], v[8:9] op_sel:[0,1] op_sel_hi:[1,0] neg_lo:[0,1] neg_hi:[0,1]
	v_pk_fma_f32 v[6:7], v[6:7], 2.0, v[4:5] op_sel_hi:[1,0,1] neg_lo:[0,0,1] neg_hi:[0,0,1]
	v_mov_b32_e32 v3, v9
	v_pk_fma_f32 v[0:1], v[0:1], 2.0, v[2:3] op_sel_hi:[1,0,1] neg_lo:[0,0,1] neg_hi:[0,0,1]
	s_nop 0
	v_pk_mul_f32 v[8:9], v[0:1], s[8:9] op_sel_hi:[1,0]
	v_pk_fma_f32 v[0:1], v[0:1], s[8:9], v[6:7] op_sel_hi:[1,0,1] neg_lo:[1,0,0] neg_hi:[1,0,0]
	s_nop 0
	v_pk_add_f32 v[16:17], v[0:1], v[8:9] op_sel:[0,1] op_sel_hi:[1,0]
	v_pk_add_f32 v[0:1], v[0:1], v[8:9] op_sel:[0,1] op_sel_hi:[1,0] neg_lo:[0,1] neg_hi:[0,1]
	v_pk_add_f32 v[8:9], v[12:13], v[10:11] op_sel:[0,1] op_sel_hi:[1,0] neg_lo:[0,1] neg_hi:[0,1]
	v_mov_b32_e32 v17, v1
	v_pk_fma_f32 v[0:1], v[6:7], 2.0, v[16:17] op_sel_hi:[1,0,1] neg_lo:[0,0,1] neg_hi:[0,0,1]
	v_pk_add_f32 v[6:7], v[12:13], v[10:11] op_sel:[0,1] op_sel_hi:[1,0]
	s_nop 0
	v_mov_b32_e32 v7, v9
	v_pk_fma_f32 v[8:9], v[12:13], 2.0, v[6:7] op_sel_hi:[1,0,1] neg_lo:[0,0,1] neg_hi:[0,0,1]
	ds_write2_b64 v56, v[0:1], v[8:9] offset0:7 offset1:14
	v_pk_mul_f32 v[0:1], v[2:3], s[8:9] op_sel_hi:[1,0]
	v_pk_fma_f32 v[2:3], v[2:3], s[8:9], v[4:5] op_sel_hi:[1,0,1]
	s_nop 0
	v_pk_add_f32 v[8:9], v[2:3], v[0:1] op_sel:[0,1] op_sel_hi:[1,0]
	v_pk_add_f32 v[0:1], v[2:3], v[0:1] op_sel:[0,1] op_sel_hi:[1,0] neg_lo:[0,1] neg_hi:[0,1]
	s_nop 0
	v_mov_b32_e32 v9, v1
	v_pk_fma_f32 v[0:1], v[4:5], 2.0, v[8:9] op_sel_hi:[1,0,1] neg_lo:[0,0,1] neg_hi:[0,0,1]
	ds_write2_b64 v56, v[0:1], v[14:15] offset0:21 offset1:28
	ds_write2_b64 v56, v[16:17], v[6:7] offset0:35 offset1:42
	ds_write_b64 v56, v[8:9] offset:392
.LBB0_11:
	s_or_b64 exec, exec, s[2:3]
	s_waitcnt lgkmcnt(0)
	s_barrier
	ds_read_b64 v[0:1], v57
	v_mov_b32_e32 v4, s0
	v_mov_b32_e32 v5, s1
	v_mad_u64_u32 v[6:7], s[0:1], s6, v28, 0
	v_mov_b32_e32 v2, v7
	v_mad_u64_u32 v[2:3], s[0:1], s7, v28, v[2:3]
	v_mov_b32_e32 v7, v2
	s_waitcnt lgkmcnt(0)
	v_mul_f32_e32 v2, v39, v1
	v_fmac_f32_e32 v2, v38, v0
	v_mul_f32_e32 v0, v39, v0
	s_mov_b32 s0, 0x92492492
	v_fma_f32 v0, v38, v1, -v0
	s_mov_b32 s1, 0x3f924924
	v_cvt_f64_f32_e32 v[0:1], v0
	v_cvt_f64_f32_e32 v[2:3], v2
	v_mul_f64 v[0:1], v[0:1], s[0:1]
	v_mad_u64_u32 v[10:11], s[2:3], s4, v29, 0
	v_mul_f64 v[2:3], v[2:3], s[0:1]
	v_cvt_f32_f64_e32 v9, v[0:1]
	v_mov_b32_e32 v0, v11
	v_cvt_f32_f64_e32 v8, v[2:3]
	v_mad_u64_u32 v[12:13], s[2:3], s5, v29, v[0:1]
	ds_read2_b64 v[0:3], v56 offset0:8 offset1:16
	v_lshl_add_u64 v[4:5], v[6:7], 3, v[4:5]
	v_mov_b32_e32 v11, v12
	v_lshl_add_u64 v[4:5], v[10:11], 3, v[4:5]
	s_lshl_b64 s[2:3], s[4:5], 6
	s_waitcnt lgkmcnt(0)
	v_mul_f32_e32 v6, v37, v1
	v_fmac_f32_e32 v6, v36, v0
	v_mul_f32_e32 v0, v37, v0
	v_fma_f32 v0, v36, v1, -v0
	v_cvt_f64_f32_e32 v[6:7], v6
	v_cvt_f64_f32_e32 v[0:1], v0
	v_mul_f64 v[6:7], v[6:7], s[0:1]
	v_mul_f64 v[0:1], v[0:1], s[0:1]
	v_cvt_f32_f64_e32 v6, v[6:7]
	v_cvt_f32_f64_e32 v7, v[0:1]
	v_mul_f32_e32 v0, v35, v3
	v_fmac_f32_e32 v0, v34, v2
	v_cvt_f64_f32_e32 v[0:1], v0
	global_store_dwordx2 v[4:5], v[8:9], off
	v_lshl_add_u64 v[4:5], v[4:5], 0, s[2:3]
	v_mul_f64 v[0:1], v[0:1], s[0:1]
	global_store_dwordx2 v[4:5], v[6:7], off
	v_cvt_f32_f64_e32 v6, v[0:1]
	v_mul_f32_e32 v0, v35, v2
	v_fma_f32 v0, v34, v3, -v0
	v_cvt_f64_f32_e32 v[8:9], v0
	ds_read2_b64 v[0:3], v56 offset0:24 offset1:32
	v_mul_f64 v[8:9], v[8:9], s[0:1]
	v_cvt_f32_f64_e32 v7, v[8:9]
	v_lshl_add_u64 v[4:5], v[4:5], 0, s[2:3]
	global_store_dwordx2 v[4:5], v[6:7], off
	s_waitcnt lgkmcnt(0)
	v_mul_f32_e32 v6, v33, v1
	v_fmac_f32_e32 v6, v32, v0
	v_mul_f32_e32 v0, v33, v0
	v_fma_f32 v0, v32, v1, -v0
	v_cvt_f64_f32_e32 v[6:7], v6
	v_cvt_f64_f32_e32 v[0:1], v0
	v_mul_f64 v[6:7], v[6:7], s[0:1]
	v_mul_f64 v[0:1], v[0:1], s[0:1]
	v_cvt_f32_f64_e32 v6, v[6:7]
	v_cvt_f32_f64_e32 v7, v[0:1]
	v_mul_f32_e32 v0, v31, v3
	v_fmac_f32_e32 v0, v30, v2
	v_cvt_f64_f32_e32 v[0:1], v0
	v_lshl_add_u64 v[4:5], v[4:5], 0, s[2:3]
	v_mul_f64 v[0:1], v[0:1], s[0:1]
	global_store_dwordx2 v[4:5], v[6:7], off
	v_cvt_f32_f64_e32 v6, v[0:1]
	v_mul_f32_e32 v0, v31, v2
	v_fma_f32 v0, v30, v3, -v0
	v_cvt_f64_f32_e32 v[8:9], v0
	ds_read2_b64 v[0:3], v56 offset0:40 offset1:48
	v_mul_f64 v[8:9], v[8:9], s[0:1]
	v_cvt_f32_f64_e32 v7, v[8:9]
	v_lshl_add_u64 v[4:5], v[4:5], 0, s[2:3]
	global_store_dwordx2 v[4:5], v[6:7], off
	s_waitcnt lgkmcnt(0)
	v_mul_f32_e32 v6, v27, v1
	v_fmac_f32_e32 v6, v26, v0
	v_mul_f32_e32 v0, v27, v0
	v_fma_f32 v0, v26, v1, -v0
	v_cvt_f64_f32_e32 v[6:7], v6
	v_cvt_f64_f32_e32 v[0:1], v0
	v_mul_f64 v[6:7], v[6:7], s[0:1]
	v_mul_f64 v[0:1], v[0:1], s[0:1]
	v_cvt_f32_f64_e32 v6, v[6:7]
	v_cvt_f32_f64_e32 v7, v[0:1]
	v_lshl_add_u64 v[0:1], v[4:5], 0, s[2:3]
	v_mul_f32_e32 v4, v25, v3
	v_fmac_f32_e32 v4, v24, v2
	v_mul_f32_e32 v2, v25, v2
	v_fma_f32 v2, v24, v3, -v2
	v_cvt_f64_f32_e32 v[4:5], v4
	v_cvt_f64_f32_e32 v[2:3], v2
	v_mul_f64 v[4:5], v[4:5], s[0:1]
	v_mul_f64 v[2:3], v[2:3], s[0:1]
	global_store_dwordx2 v[0:1], v[6:7], off
	v_cvt_f32_f64_e32 v4, v[4:5]
	v_cvt_f32_f64_e32 v5, v[2:3]
	v_lshl_add_u64 v[0:1], v[0:1], 0, s[2:3]
	global_store_dwordx2 v[0:1], v[4:5], off
.LBB0_12:
	s_endpgm
	.section	.rodata,"a",@progbits
	.p2align	6, 0x0
	.amdhsa_kernel bluestein_single_back_len56_dim1_sp_op_CI_CI
		.amdhsa_group_segment_fixed_size 7168
		.amdhsa_private_segment_fixed_size 0
		.amdhsa_kernarg_size 104
		.amdhsa_user_sgpr_count 2
		.amdhsa_user_sgpr_dispatch_ptr 0
		.amdhsa_user_sgpr_queue_ptr 0
		.amdhsa_user_sgpr_kernarg_segment_ptr 1
		.amdhsa_user_sgpr_dispatch_id 0
		.amdhsa_user_sgpr_kernarg_preload_length 0
		.amdhsa_user_sgpr_kernarg_preload_offset 0
		.amdhsa_user_sgpr_private_segment_size 0
		.amdhsa_uses_dynamic_stack 0
		.amdhsa_enable_private_segment 0
		.amdhsa_system_sgpr_workgroup_id_x 1
		.amdhsa_system_sgpr_workgroup_id_y 0
		.amdhsa_system_sgpr_workgroup_id_z 0
		.amdhsa_system_sgpr_workgroup_info 0
		.amdhsa_system_vgpr_workitem_id 0
		.amdhsa_next_free_vgpr 74
		.amdhsa_next_free_sgpr 20
		.amdhsa_accum_offset 76
		.amdhsa_reserve_vcc 1
		.amdhsa_float_round_mode_32 0
		.amdhsa_float_round_mode_16_64 0
		.amdhsa_float_denorm_mode_32 3
		.amdhsa_float_denorm_mode_16_64 3
		.amdhsa_dx10_clamp 1
		.amdhsa_ieee_mode 1
		.amdhsa_fp16_overflow 0
		.amdhsa_tg_split 0
		.amdhsa_exception_fp_ieee_invalid_op 0
		.amdhsa_exception_fp_denorm_src 0
		.amdhsa_exception_fp_ieee_div_zero 0
		.amdhsa_exception_fp_ieee_overflow 0
		.amdhsa_exception_fp_ieee_underflow 0
		.amdhsa_exception_fp_ieee_inexact 0
		.amdhsa_exception_int_div_zero 0
	.end_amdhsa_kernel
	.text
.Lfunc_end0:
	.size	bluestein_single_back_len56_dim1_sp_op_CI_CI, .Lfunc_end0-bluestein_single_back_len56_dim1_sp_op_CI_CI
                                        ; -- End function
	.section	.AMDGPU.csdata,"",@progbits
; Kernel info:
; codeLenInByte = 4420
; NumSgprs: 26
; NumVgprs: 74
; NumAgprs: 0
; TotalNumVgprs: 74
; ScratchSize: 0
; MemoryBound: 0
; FloatMode: 240
; IeeeMode: 1
; LDSByteSize: 7168 bytes/workgroup (compile time only)
; SGPRBlocks: 3
; VGPRBlocks: 9
; NumSGPRsForWavesPerEU: 26
; NumVGPRsForWavesPerEU: 74
; AccumOffset: 76
; Occupancy: 6
; WaveLimiterHint : 1
; COMPUTE_PGM_RSRC2:SCRATCH_EN: 0
; COMPUTE_PGM_RSRC2:USER_SGPR: 2
; COMPUTE_PGM_RSRC2:TRAP_HANDLER: 0
; COMPUTE_PGM_RSRC2:TGID_X_EN: 1
; COMPUTE_PGM_RSRC2:TGID_Y_EN: 0
; COMPUTE_PGM_RSRC2:TGID_Z_EN: 0
; COMPUTE_PGM_RSRC2:TIDIG_COMP_CNT: 0
; COMPUTE_PGM_RSRC3_GFX90A:ACCUM_OFFSET: 18
; COMPUTE_PGM_RSRC3_GFX90A:TG_SPLIT: 0
	.text
	.p2alignl 6, 3212836864
	.fill 256, 4, 3212836864
	.type	__hip_cuid_44474d6a29162c21,@object ; @__hip_cuid_44474d6a29162c21
	.section	.bss,"aw",@nobits
	.globl	__hip_cuid_44474d6a29162c21
__hip_cuid_44474d6a29162c21:
	.byte	0                               ; 0x0
	.size	__hip_cuid_44474d6a29162c21, 1

	.ident	"AMD clang version 19.0.0git (https://github.com/RadeonOpenCompute/llvm-project roc-6.4.0 25133 c7fe45cf4b819c5991fe208aaa96edf142730f1d)"
	.section	".note.GNU-stack","",@progbits
	.addrsig
	.addrsig_sym __hip_cuid_44474d6a29162c21
	.amdgpu_metadata
---
amdhsa.kernels:
  - .agpr_count:     0
    .args:
      - .actual_access:  read_only
        .address_space:  global
        .offset:         0
        .size:           8
        .value_kind:     global_buffer
      - .actual_access:  read_only
        .address_space:  global
        .offset:         8
        .size:           8
        .value_kind:     global_buffer
      - .actual_access:  read_only
        .address_space:  global
        .offset:         16
        .size:           8
        .value_kind:     global_buffer
      - .actual_access:  read_only
        .address_space:  global
        .offset:         24
        .size:           8
        .value_kind:     global_buffer
      - .actual_access:  read_only
        .address_space:  global
        .offset:         32
        .size:           8
        .value_kind:     global_buffer
      - .offset:         40
        .size:           8
        .value_kind:     by_value
      - .address_space:  global
        .offset:         48
        .size:           8
        .value_kind:     global_buffer
      - .address_space:  global
        .offset:         56
        .size:           8
        .value_kind:     global_buffer
      - .address_space:  global
        .offset:         64
        .size:           8
        .value_kind:     global_buffer
      - .address_space:  global
        .offset:         72
        .size:           8
        .value_kind:     global_buffer
      - .offset:         80
        .size:           4
        .value_kind:     by_value
      - .address_space:  global
        .offset:         88
        .size:           8
        .value_kind:     global_buffer
      - .address_space:  global
        .offset:         96
        .size:           8
        .value_kind:     global_buffer
    .group_segment_fixed_size: 7168
    .kernarg_segment_align: 8
    .kernarg_segment_size: 104
    .language:       OpenCL C
    .language_version:
      - 2
      - 0
    .max_flat_workgroup_size: 128
    .name:           bluestein_single_back_len56_dim1_sp_op_CI_CI
    .private_segment_fixed_size: 0
    .sgpr_count:     26
    .sgpr_spill_count: 0
    .symbol:         bluestein_single_back_len56_dim1_sp_op_CI_CI.kd
    .uniform_work_group_size: 1
    .uses_dynamic_stack: false
    .vgpr_count:     74
    .vgpr_spill_count: 0
    .wavefront_size: 64
amdhsa.target:   amdgcn-amd-amdhsa--gfx950
amdhsa.version:
  - 1
  - 2
...

	.end_amdgpu_metadata
